;; amdgpu-corpus repo=ROCm/rocFFT kind=compiled arch=gfx1201 opt=O3
	.text
	.amdgcn_target "amdgcn-amd-amdhsa--gfx1201"
	.amdhsa_code_object_version 6
	.protected	fft_rtc_fwd_len660_factors_11_6_10_wgs_110_tpt_110_halfLds_half_ip_CI_unitstride_sbrr_dirReg ; -- Begin function fft_rtc_fwd_len660_factors_11_6_10_wgs_110_tpt_110_halfLds_half_ip_CI_unitstride_sbrr_dirReg
	.globl	fft_rtc_fwd_len660_factors_11_6_10_wgs_110_tpt_110_halfLds_half_ip_CI_unitstride_sbrr_dirReg
	.p2align	8
	.type	fft_rtc_fwd_len660_factors_11_6_10_wgs_110_tpt_110_halfLds_half_ip_CI_unitstride_sbrr_dirReg,@function
fft_rtc_fwd_len660_factors_11_6_10_wgs_110_tpt_110_halfLds_half_ip_CI_unitstride_sbrr_dirReg: ; @fft_rtc_fwd_len660_factors_11_6_10_wgs_110_tpt_110_halfLds_half_ip_CI_unitstride_sbrr_dirReg
; %bb.0:
	s_clause 0x2
	s_load_b128 s[4:7], s[0:1], 0x0
	s_load_b64 s[8:9], s[0:1], 0x50
	s_load_b64 s[10:11], s[0:1], 0x18
	v_mul_u32_u24_e32 v1, 0x254, v0
	v_mov_b32_e32 v3, 0
	s_delay_alu instid0(VALU_DEP_2) | instskip(NEXT) | instid1(VALU_DEP_1)
	v_lshrrev_b32_e32 v1, 16, v1
	v_add_nc_u32_e32 v5, ttmp9, v1
	v_mov_b32_e32 v1, 0
	v_mov_b32_e32 v2, 0
	;; [unrolled: 1-line block ×3, first 2 shown]
	s_wait_kmcnt 0x0
	v_cmp_lt_u64_e64 s2, s[6:7], 2
	s_delay_alu instid0(VALU_DEP_1)
	s_and_b32 vcc_lo, exec_lo, s2
	s_cbranch_vccnz .LBB0_8
; %bb.1:
	s_load_b64 s[2:3], s[0:1], 0x10
	v_mov_b32_e32 v1, 0
	v_mov_b32_e32 v2, 0
	s_add_nc_u64 s[12:13], s[10:11], 8
	s_mov_b64 s[14:15], 1
	s_wait_kmcnt 0x0
	s_add_nc_u64 s[16:17], s[2:3], 8
	s_mov_b32 s3, 0
.LBB0_2:                                ; =>This Inner Loop Header: Depth=1
	s_load_b64 s[18:19], s[16:17], 0x0
                                        ; implicit-def: $vgpr9_vgpr10
	s_mov_b32 s2, exec_lo
	s_wait_kmcnt 0x0
	v_or_b32_e32 v4, s19, v6
	s_delay_alu instid0(VALU_DEP_1)
	v_cmpx_ne_u64_e32 0, v[3:4]
	s_wait_alu 0xfffe
	s_xor_b32 s20, exec_lo, s2
	s_cbranch_execz .LBB0_4
; %bb.3:                                ;   in Loop: Header=BB0_2 Depth=1
	s_cvt_f32_u32 s2, s18
	s_cvt_f32_u32 s21, s19
	s_sub_nc_u64 s[24:25], 0, s[18:19]
	s_wait_alu 0xfffe
	s_delay_alu instid0(SALU_CYCLE_1) | instskip(SKIP_1) | instid1(SALU_CYCLE_2)
	s_fmamk_f32 s2, s21, 0x4f800000, s2
	s_wait_alu 0xfffe
	v_s_rcp_f32 s2, s2
	s_delay_alu instid0(TRANS32_DEP_1) | instskip(SKIP_1) | instid1(SALU_CYCLE_2)
	s_mul_f32 s2, s2, 0x5f7ffffc
	s_wait_alu 0xfffe
	s_mul_f32 s21, s2, 0x2f800000
	s_wait_alu 0xfffe
	s_delay_alu instid0(SALU_CYCLE_2) | instskip(SKIP_1) | instid1(SALU_CYCLE_2)
	s_trunc_f32 s21, s21
	s_wait_alu 0xfffe
	s_fmamk_f32 s2, s21, 0xcf800000, s2
	s_cvt_u32_f32 s23, s21
	s_wait_alu 0xfffe
	s_delay_alu instid0(SALU_CYCLE_1) | instskip(SKIP_1) | instid1(SALU_CYCLE_2)
	s_cvt_u32_f32 s22, s2
	s_wait_alu 0xfffe
	s_mul_u64 s[26:27], s[24:25], s[22:23]
	s_wait_alu 0xfffe
	s_mul_hi_u32 s29, s22, s27
	s_mul_i32 s28, s22, s27
	s_mul_hi_u32 s2, s22, s26
	s_mul_i32 s30, s23, s26
	s_wait_alu 0xfffe
	s_add_nc_u64 s[28:29], s[2:3], s[28:29]
	s_mul_hi_u32 s21, s23, s26
	s_mul_hi_u32 s31, s23, s27
	s_add_co_u32 s2, s28, s30
	s_wait_alu 0xfffe
	s_add_co_ci_u32 s2, s29, s21
	s_mul_i32 s26, s23, s27
	s_add_co_ci_u32 s27, s31, 0
	s_wait_alu 0xfffe
	s_add_nc_u64 s[26:27], s[2:3], s[26:27]
	s_wait_alu 0xfffe
	v_add_co_u32 v4, s2, s22, s26
	s_delay_alu instid0(VALU_DEP_1) | instskip(SKIP_1) | instid1(VALU_DEP_1)
	s_cmp_lg_u32 s2, 0
	s_add_co_ci_u32 s23, s23, s27
	v_readfirstlane_b32 s22, v4
	s_wait_alu 0xfffe
	s_delay_alu instid0(VALU_DEP_1)
	s_mul_u64 s[24:25], s[24:25], s[22:23]
	s_wait_alu 0xfffe
	s_mul_hi_u32 s27, s22, s25
	s_mul_i32 s26, s22, s25
	s_mul_hi_u32 s2, s22, s24
	s_mul_i32 s28, s23, s24
	s_wait_alu 0xfffe
	s_add_nc_u64 s[26:27], s[2:3], s[26:27]
	s_mul_hi_u32 s21, s23, s24
	s_mul_hi_u32 s22, s23, s25
	s_wait_alu 0xfffe
	s_add_co_u32 s2, s26, s28
	s_add_co_ci_u32 s2, s27, s21
	s_mul_i32 s24, s23, s25
	s_add_co_ci_u32 s25, s22, 0
	s_wait_alu 0xfffe
	s_add_nc_u64 s[24:25], s[2:3], s[24:25]
	s_wait_alu 0xfffe
	v_add_co_u32 v4, s2, v4, s24
	s_delay_alu instid0(VALU_DEP_1) | instskip(SKIP_1) | instid1(VALU_DEP_1)
	s_cmp_lg_u32 s2, 0
	s_add_co_ci_u32 s2, s23, s25
	v_mul_hi_u32 v13, v5, v4
	s_wait_alu 0xfffe
	v_mad_co_u64_u32 v[7:8], null, v5, s2, 0
	v_mad_co_u64_u32 v[9:10], null, v6, v4, 0
	;; [unrolled: 1-line block ×3, first 2 shown]
	s_delay_alu instid0(VALU_DEP_3) | instskip(SKIP_1) | instid1(VALU_DEP_4)
	v_add_co_u32 v4, vcc_lo, v13, v7
	s_wait_alu 0xfffd
	v_add_co_ci_u32_e32 v7, vcc_lo, 0, v8, vcc_lo
	s_delay_alu instid0(VALU_DEP_2) | instskip(SKIP_1) | instid1(VALU_DEP_2)
	v_add_co_u32 v4, vcc_lo, v4, v9
	s_wait_alu 0xfffd
	v_add_co_ci_u32_e32 v4, vcc_lo, v7, v10, vcc_lo
	s_wait_alu 0xfffd
	v_add_co_ci_u32_e32 v7, vcc_lo, 0, v12, vcc_lo
	s_delay_alu instid0(VALU_DEP_2) | instskip(SKIP_1) | instid1(VALU_DEP_2)
	v_add_co_u32 v4, vcc_lo, v4, v11
	s_wait_alu 0xfffd
	v_add_co_ci_u32_e32 v9, vcc_lo, 0, v7, vcc_lo
	s_delay_alu instid0(VALU_DEP_2) | instskip(SKIP_1) | instid1(VALU_DEP_3)
	v_mul_lo_u32 v10, s19, v4
	v_mad_co_u64_u32 v[7:8], null, s18, v4, 0
	v_mul_lo_u32 v11, s18, v9
	s_delay_alu instid0(VALU_DEP_2) | instskip(NEXT) | instid1(VALU_DEP_2)
	v_sub_co_u32 v7, vcc_lo, v5, v7
	v_add3_u32 v8, v8, v11, v10
	s_delay_alu instid0(VALU_DEP_1) | instskip(SKIP_1) | instid1(VALU_DEP_1)
	v_sub_nc_u32_e32 v10, v6, v8
	s_wait_alu 0xfffd
	v_subrev_co_ci_u32_e64 v10, s2, s19, v10, vcc_lo
	v_add_co_u32 v11, s2, v4, 2
	s_wait_alu 0xf1ff
	v_add_co_ci_u32_e64 v12, s2, 0, v9, s2
	v_sub_co_u32 v13, s2, v7, s18
	v_sub_co_ci_u32_e32 v8, vcc_lo, v6, v8, vcc_lo
	s_wait_alu 0xf1ff
	v_subrev_co_ci_u32_e64 v10, s2, 0, v10, s2
	s_delay_alu instid0(VALU_DEP_3) | instskip(NEXT) | instid1(VALU_DEP_3)
	v_cmp_le_u32_e32 vcc_lo, s18, v13
	v_cmp_eq_u32_e64 s2, s19, v8
	s_wait_alu 0xfffd
	v_cndmask_b32_e64 v13, 0, -1, vcc_lo
	v_cmp_le_u32_e32 vcc_lo, s19, v10
	s_wait_alu 0xfffd
	v_cndmask_b32_e64 v14, 0, -1, vcc_lo
	v_cmp_le_u32_e32 vcc_lo, s18, v7
	;; [unrolled: 3-line block ×3, first 2 shown]
	s_wait_alu 0xfffd
	v_cndmask_b32_e64 v15, 0, -1, vcc_lo
	v_cmp_eq_u32_e32 vcc_lo, s19, v10
	s_wait_alu 0xf1ff
	s_delay_alu instid0(VALU_DEP_2)
	v_cndmask_b32_e64 v7, v15, v7, s2
	s_wait_alu 0xfffd
	v_cndmask_b32_e32 v10, v14, v13, vcc_lo
	v_add_co_u32 v13, vcc_lo, v4, 1
	s_wait_alu 0xfffd
	v_add_co_ci_u32_e32 v14, vcc_lo, 0, v9, vcc_lo
	s_delay_alu instid0(VALU_DEP_3) | instskip(SKIP_1) | instid1(VALU_DEP_2)
	v_cmp_ne_u32_e32 vcc_lo, 0, v10
	s_wait_alu 0xfffd
	v_dual_cndmask_b32 v11, v13, v11 :: v_dual_cndmask_b32 v8, v14, v12
	v_cmp_ne_u32_e32 vcc_lo, 0, v7
	s_wait_alu 0xfffd
	s_delay_alu instid0(VALU_DEP_2)
	v_dual_cndmask_b32 v10, v9, v8 :: v_dual_cndmask_b32 v9, v4, v11
.LBB0_4:                                ;   in Loop: Header=BB0_2 Depth=1
	s_wait_alu 0xfffe
	s_and_not1_saveexec_b32 s2, s20
	s_cbranch_execz .LBB0_6
; %bb.5:                                ;   in Loop: Header=BB0_2 Depth=1
	v_cvt_f32_u32_e32 v4, s18
	s_sub_co_i32 s20, 0, s18
	v_mov_b32_e32 v10, v3
	s_delay_alu instid0(VALU_DEP_2) | instskip(NEXT) | instid1(TRANS32_DEP_1)
	v_rcp_iflag_f32_e32 v4, v4
	v_mul_f32_e32 v4, 0x4f7ffffe, v4
	s_delay_alu instid0(VALU_DEP_1) | instskip(SKIP_1) | instid1(VALU_DEP_1)
	v_cvt_u32_f32_e32 v4, v4
	s_wait_alu 0xfffe
	v_mul_lo_u32 v7, s20, v4
	s_delay_alu instid0(VALU_DEP_1) | instskip(NEXT) | instid1(VALU_DEP_1)
	v_mul_hi_u32 v7, v4, v7
	v_add_nc_u32_e32 v4, v4, v7
	s_delay_alu instid0(VALU_DEP_1) | instskip(NEXT) | instid1(VALU_DEP_1)
	v_mul_hi_u32 v4, v5, v4
	v_mul_lo_u32 v7, v4, s18
	v_add_nc_u32_e32 v8, 1, v4
	s_delay_alu instid0(VALU_DEP_2) | instskip(NEXT) | instid1(VALU_DEP_1)
	v_sub_nc_u32_e32 v7, v5, v7
	v_subrev_nc_u32_e32 v9, s18, v7
	v_cmp_le_u32_e32 vcc_lo, s18, v7
	s_wait_alu 0xfffd
	s_delay_alu instid0(VALU_DEP_2) | instskip(NEXT) | instid1(VALU_DEP_1)
	v_dual_cndmask_b32 v7, v7, v9 :: v_dual_cndmask_b32 v4, v4, v8
	v_cmp_le_u32_e32 vcc_lo, s18, v7
	s_delay_alu instid0(VALU_DEP_2) | instskip(SKIP_1) | instid1(VALU_DEP_1)
	v_add_nc_u32_e32 v8, 1, v4
	s_wait_alu 0xfffd
	v_cndmask_b32_e32 v9, v4, v8, vcc_lo
.LBB0_6:                                ;   in Loop: Header=BB0_2 Depth=1
	s_wait_alu 0xfffe
	s_or_b32 exec_lo, exec_lo, s2
	s_load_b64 s[20:21], s[12:13], 0x0
	v_mul_lo_u32 v4, v10, s18
	v_mul_lo_u32 v11, v9, s19
	v_mad_co_u64_u32 v[7:8], null, v9, s18, 0
	s_add_nc_u64 s[14:15], s[14:15], 1
	s_add_nc_u64 s[12:13], s[12:13], 8
	s_wait_alu 0xfffe
	v_cmp_ge_u64_e64 s2, s[14:15], s[6:7]
	s_add_nc_u64 s[16:17], s[16:17], 8
	s_delay_alu instid0(VALU_DEP_2) | instskip(NEXT) | instid1(VALU_DEP_3)
	v_add3_u32 v4, v8, v11, v4
	v_sub_co_u32 v5, vcc_lo, v5, v7
	s_wait_alu 0xfffd
	s_delay_alu instid0(VALU_DEP_2) | instskip(SKIP_3) | instid1(VALU_DEP_2)
	v_sub_co_ci_u32_e32 v4, vcc_lo, v6, v4, vcc_lo
	s_and_b32 vcc_lo, exec_lo, s2
	s_wait_kmcnt 0x0
	v_mul_lo_u32 v6, s21, v5
	v_mul_lo_u32 v4, s20, v4
	v_mad_co_u64_u32 v[1:2], null, s20, v5, v[1:2]
	s_delay_alu instid0(VALU_DEP_1)
	v_add3_u32 v2, v6, v2, v4
	s_wait_alu 0xfffe
	s_cbranch_vccnz .LBB0_9
; %bb.7:                                ;   in Loop: Header=BB0_2 Depth=1
	v_dual_mov_b32 v5, v9 :: v_dual_mov_b32 v6, v10
	s_branch .LBB0_2
.LBB0_8:
	v_dual_mov_b32 v10, v6 :: v_dual_mov_b32 v9, v5
.LBB0_9:
	s_lshl_b64 s[2:3], s[6:7], 3
	v_mul_hi_u32 v3, 0x253c826, v0
	s_wait_alu 0xfffe
	s_add_nc_u64 s[2:3], s[10:11], s[2:3]
                                        ; implicit-def: $vgpr19
                                        ; implicit-def: $vgpr21
                                        ; implicit-def: $vgpr17
                                        ; implicit-def: $vgpr23
                                        ; implicit-def: $vgpr16
                                        ; implicit-def: $vgpr22
                                        ; implicit-def: $vgpr15
                                        ; implicit-def: $vgpr24
                                        ; implicit-def: $vgpr14
                                        ; implicit-def: $vgpr7
                                        ; implicit-def: $vgpr28
                                        ; implicit-def: $vgpr6
                                        ; implicit-def: $vgpr27
                                        ; implicit-def: $vgpr26
                                        ; implicit-def: $vgpr13
                                        ; implicit-def: $vgpr25
                                        ; implicit-def: $vgpr18
                                        ; implicit-def: $vgpr20
	s_load_b64 s[2:3], s[2:3], 0x0
	s_load_b64 s[0:1], s[0:1], 0x20
	s_delay_alu instid0(VALU_DEP_1) | instskip(NEXT) | instid1(VALU_DEP_1)
	v_mul_u32_u24_e32 v3, 0x6e, v3
	v_sub_nc_u32_e32 v8, v0, v3
	v_mov_b32_e32 v0, 0
	s_wait_kmcnt 0x0
	v_mul_lo_u32 v4, s2, v10
	v_mul_lo_u32 v5, s3, v9
	v_mad_co_u64_u32 v[1:2], null, s2, v9, v[1:2]
	v_cmp_gt_u64_e32 vcc_lo, s[0:1], v[9:10]
	v_cmp_gt_u32_e64 s0, 60, v8
                                        ; implicit-def: $vgpr9
	s_delay_alu instid0(VALU_DEP_3) | instskip(SKIP_1) | instid1(VALU_DEP_3)
	v_add3_u32 v2, v5, v2, v4
	v_mov_b32_e32 v5, 0
	s_and_b32 s1, vcc_lo, s0
                                        ; implicit-def: $vgpr4
	s_delay_alu instid0(VALU_DEP_2)
	v_lshlrev_b64_e32 v[10:11], 2, v[1:2]
	s_wait_alu 0xfffe
	s_and_saveexec_b32 s2, s1
	s_cbranch_execz .LBB0_11
; %bb.10:
	v_mov_b32_e32 v9, 0
	s_delay_alu instid0(VALU_DEP_2) | instskip(SKIP_2) | instid1(VALU_DEP_3)
	v_add_co_u32 v2, s1, s8, v10
	s_wait_alu 0xf1ff
	v_add_co_ci_u32_e64 v3, s1, s9, v11, s1
	v_lshlrev_b64_e32 v[0:1], 2, v[8:9]
	s_delay_alu instid0(VALU_DEP_1) | instskip(SKIP_1) | instid1(VALU_DEP_2)
	v_add_co_u32 v2, s1, v2, v0
	s_wait_alu 0xf1ff
	v_add_co_ci_u32_e64 v3, s1, v3, v1, s1
	s_clause 0xa
	global_load_b32 v0, v[2:3], off
	global_load_b32 v21, v[2:3], off offset:240
	global_load_b32 v23, v[2:3], off offset:480
	;; [unrolled: 1-line block ×10, first 2 shown]
	s_wait_loadcnt 0xa
	v_lshrrev_b32_e32 v5, 16, v0
	s_wait_loadcnt 0x9
	v_lshrrev_b32_e32 v19, 16, v21
	;; [unrolled: 2-line block ×11, first 2 shown]
.LBB0_11:
	s_wait_alu 0xfffe
	s_or_b32 exec_lo, exec_lo, s2
	v_add_f16_e32 v41, v21, v28
	s_delay_alu instid0(VALU_DEP_2)
	v_sub_f16_e32 v33, v19, v4
	v_add_f16_e32 v40, v23, v27
	v_sub_f16_e32 v34, v17, v6
	v_add_f16_e32 v38, v22, v26
	v_pk_mul_f16 v32, 0x36a6b08e, v41 op_sel_hi:[1,0]
	v_pk_mul_f16 v45, 0xb93dbbad, v41 op_sel_hi:[1,0]
	;; [unrolled: 1-line block ×4, first 2 shown]
	v_sub_f16_e32 v35, v16, v9
	v_pk_fma_f16 v2, 0xbb47bbeb, v33, v32 op_sel_hi:[1,0,1]
	v_pk_fma_f16 v3, 0xba0cb482, v33, v45 op_sel_hi:[1,0,1]
	v_add_f16_e32 v36, v24, v25
	v_pk_fma_f16 v12, 0xba0c3482, v34, v37 op_sel_hi:[1,0,1]
	v_pk_mul_f16 v30, 0xbbad36a6, v38 op_sel_hi:[1,0]
	v_pk_add_f16 v2, v0, v2 op_sel_hi:[0,1]
	v_pk_add_f16 v3, v0, v3 op_sel_hi:[0,1]
	v_pk_fma_f16 v42, 0x3beb3853, v34, v46 op_sel_hi:[1,0,1]
	v_pk_mul_f16 v44, 0x3abbb93d, v38 op_sel_hi:[1,0]
	v_sub_f16_e32 v31, v15, v13
	v_add_f16_e32 v39, v7, v20
	v_pk_add_f16 v2, v2, v12
	v_pk_fma_f16 v12, 0x34823b47, v35, v30 op_sel_hi:[1,0,1]
	v_pk_mul_f16 v29, 0xb08e3abb, v36 op_sel_hi:[1,0]
	v_pk_add_f16 v3, v3, v42
	v_pk_fma_f16 v43, 0xb853ba0c, v35, v44 op_sel_hi:[1,0,1]
	v_pk_mul_f16 v42, 0xbbad36a6, v36 op_sel_hi:[1,0]
	v_sub_f16_e32 v1, v14, v18
	v_pk_add_f16 v12, v2, v12
	v_pk_fma_f16 v47, 0x3bebb853, v31, v29 op_sel_hi:[1,0,1]
	v_pk_mul_f16 v2, 0x3abbb93d, v39 op_sel_hi:[1,0]
	v_pk_add_f16 v3, v3, v43
	v_pk_fma_f16 v48, 0xb4823b47, v31, v42 op_sel_hi:[1,0,1]
	v_pk_mul_f16 v43, 0x36a6b08e, v39 op_sel_hi:[1,0]
	v_pk_add_f16 v12, v12, v47
	v_pk_fma_f16 v47, 0x3853ba0c, v1, v2 op_sel_hi:[1,0,1]
	s_delay_alu instid0(VALU_DEP_4) | instskip(NEXT) | instid1(VALU_DEP_4)
	v_pk_add_f16 v3, v3, v48
	v_pk_fma_f16 v48, 0x3b47bbeb, v1, v43 op_sel_hi:[1,0,1]
	s_delay_alu instid0(VALU_DEP_3) | instskip(NEXT) | instid1(VALU_DEP_2)
	v_pk_add_f16 v12, v12, v47
	v_pk_add_f16 v3, v3, v48
	s_and_saveexec_b32 s1, s0
	s_cbranch_execz .LBB0_13
; %bb.12:
	v_pk_mul_f16 v55, 0xba0cb482, v33 op_sel_hi:[1,0]
	v_pack_b32_f16 v47, v41, v41
	v_pk_mul_f16 v64, 0xb4823b47, v31 op_sel_hi:[1,0]
	v_mul_f16_e32 v41, 0x3abb, v41
	v_pack_b32_f16 v48, v33, v33
	v_sub_f16_e32 v45, v45, v55
	v_pk_mul_f16 v55, 0x3beb3853, v34 op_sel_hi:[1,0]
	v_pk_mul_f16 v49, 0xbb47bbeb, v33 op_sel_hi:[1,0]
	v_pack_b32_f16 v51, v40, v40
	v_fmamk_f16 v65, v33, 0xb853, v41
	v_add_f16_e32 v45, v0, v45
	v_sub_f16_e32 v46, v46, v55
	v_pk_mul_f16 v55, 0xb853ba0c, v35 op_sel_hi:[1,0]
	v_mul_f16_e32 v40, 0x36a6, v40
	v_sub_f16_e32 v42, v42, v64
	v_mul_f16_e32 v33, 0xb853, v33
	v_add_f16_e32 v45, v45, v46
	v_sub_f16_e32 v44, v44, v55
	v_add_f16_e32 v55, v0, v21
	v_pack_b32_f16 v52, v34, v34
	v_pk_mul_f16 v53, 0xba0c3482, v34 op_sel_hi:[1,0]
	v_bfi_b32 v32, 0xffff, v41, v32
	v_add_f16_e32 v44, v45, v44
	v_add_f16_e32 v45, v55, v23
	v_fmamk_f16 v55, v34, 0xbb47, v40
	v_mul_f16_e32 v34, 0xbb47, v34
	v_bfi_b32 v33, 0xffff, v33, v49
	v_add_f16_e32 v42, v44, v42
	v_add_f16_e32 v44, v45, v22
	v_perm_b32 v50, v0, v0, 0x5040100
	v_pack_b32_f16 v54, v38, v38
	v_mul_f16_e32 v38, 0xb08e, v38
	v_pk_add_f16 v32, v32, v33 neg_lo:[0,1] neg_hi:[0,1]
	v_add_f16_e32 v44, v44, v24
	v_bfi_b32 v33, 0xffff, v40, v37
	v_bfi_b32 v34, 0xffff, v34, v53
	v_pk_mul_f16 v37, 0x3a0c3beb, v48
	v_pack_b32_f16 v56, v35, v35
	v_pk_mul_f16 v57, 0x34823b47, v35 op_sel_hi:[1,0]
	v_fmamk_f16 v45, v35, 0xbbeb, v38
	v_mul_f16_e32 v35, 0xbbeb, v35
	v_add_f16_e32 v44, v44, v7
	v_pk_add_f16 v32, v50, v32
	v_pk_add_f16 v33, v33, v34 neg_lo:[0,1] neg_hi:[0,1]
	v_pk_fma_f16 v34, 0xb93db08e, v47, v37
	v_pk_mul_f16 v37, 0xbbebb482, v52
	v_pack_b32_f16 v58, v36, v36
	v_pack_b32_f16 v59, v31, v31
	v_pk_mul_f16 v60, 0x3bebb853, v31 op_sel_hi:[1,0]
	v_mul_f16_e32 v36, 0xb93d, v36
	v_mul_f16_e32 v41, 0xba0c, v31
	v_add_f16_e32 v44, v44, v20
	v_bfi_b32 v30, 0xffff, v38, v30
	v_bfi_b32 v35, 0xffff, v35, v57
	v_pk_add_f16 v32, v32, v33
	v_pk_add_f16 v33, v50, v34
	v_pk_fma_f16 v34, 0xb08ebbad, v51, v37
	v_pk_mul_f16 v37, 0x3853bb47, v56
	v_pack_b32_f16 v61, v39, v39
	v_pack_b32_f16 v62, v1, v1
	v_pk_mul_f16 v63, 0x3853ba0c, v1 op_sel_hi:[1,0]
	v_add_f16_e32 v0, v0, v65
	v_fmamk_f16 v31, v31, 0xba0c, v36
	v_mul_f16_e32 v39, 0xbbad, v39
	v_mul_f16_e32 v40, 0xb482, v1
	v_add_f16_e32 v44, v25, v44
	v_pk_add_f16 v30, v30, v35 neg_lo:[0,1] neg_hi:[0,1]
	v_bfi_b32 v29, 0xffff, v36, v29
	v_bfi_b32 v35, 0xffff, v41, v60
	v_pk_add_f16 v33, v33, v34
	v_pk_fma_f16 v34, 0x3abb36a6, v54, v37
	v_pk_mul_f16 v36, 0x34823853, v59
	v_pk_mul_f16 v46, 0x3b47bbeb, v1 op_sel_hi:[1,0]
	v_add_f16_e32 v0, v0, v55
	v_pk_add_f16 v30, v32, v30
	v_pk_add_f16 v29, v29, v35 neg_lo:[0,1] neg_hi:[0,1]
	v_bfi_b32 v2, 0xffff, v39, v2
	v_pk_add_f16 v32, v33, v34
	v_pk_fma_f16 v33, 0xbbad3abb, v58, v36
	v_pk_mul_f16 v34, 0xbb473a0c, v62
	v_bfi_b32 v35, 0xffff, v40, v63
	v_add_f16_e32 v36, v26, v44
	v_sub_f16_e32 v43, v43, v46
	v_add_f16_e32 v0, v0, v45
	v_pk_add_f16 v29, v30, v29
	v_pk_add_f16 v30, v32, v33
	v_pk_fma_f16 v32, 0x36a6b93d, v61, v34
	v_pk_add_f16 v2, v2, v35 neg_lo:[0,1] neg_hi:[0,1]
	v_add_f16_e32 v33, v27, v36
	v_add_f16_e32 v34, v42, v43
	v_add_f16_e32 v31, v0, v31
	v_pk_add_f16 v0, v30, v32
	v_pk_add_f16 v29, v29, v2
	v_add_f16_e32 v30, v28, v33
	v_fmamk_f16 v32, v1, 0xb482, v39
	v_mad_u32_u24 v33, v8, 22, 0
	v_alignbit_b32 v2, v34, v0, 16
	v_alignbit_b32 v1, v0, v29, 16
	v_pack_b32_f16 v0, v30, v29
	v_add_f16_e32 v29, v31, v32
	ds_store_b128 v33, v[0:3]
	ds_store_b32 v33, v12 offset:16
	ds_store_b16 v33, v29 offset:20
.LBB0_13:
	s_wait_alu 0xfffe
	s_or_b32 exec_lo, exec_lo, s1
	v_sub_f16_e32 v44, v21, v28
	v_add_f16_e32 v42, v19, v4
	v_sub_f16_e32 v43, v23, v27
	v_add_f16_e32 v34, v17, v6
	v_sub_f16_e32 v38, v22, v26
	v_pk_mul_f16 v40, 0xbb47bbeb, v44 op_sel_hi:[1,0]
	v_pk_mul_f16 v28, 0xba0cb482, v44 op_sel_hi:[1,0]
	v_pk_mul_f16 v39, 0xba0c3482, v43 op_sel_hi:[1,0]
	v_add_f16_e32 v32, v16, v9
	v_pk_mul_f16 v41, 0x34823b47, v38 op_sel_hi:[1,0]
	v_pk_fma_f16 v0, 0x36a6b08e, v42, v40 op_sel_hi:[1,0,1] neg_lo:[0,0,1] neg_hi:[0,0,1]
	v_pk_mul_f16 v27, 0x3beb3853, v43 op_sel_hi:[1,0]
	v_pk_fma_f16 v1, 0xb93dbbad, v34, v39 op_sel_hi:[1,0,1] neg_lo:[0,0,1] neg_hi:[0,0,1]
	v_pk_fma_f16 v2, 0xb93dbbad, v42, v28 op_sel_hi:[1,0,1] neg_lo:[0,0,1] neg_hi:[0,0,1]
	;; [unrolled: 1-line block ×3, first 2 shown]
	v_pk_add_f16 v0, v5, v0 op_sel_hi:[0,1]
	v_pk_fma_f16 v22, 0xb08e3abb, v34, v27 op_sel_hi:[1,0,1] neg_lo:[0,0,1] neg_hi:[0,0,1]
	v_sub_f16_e32 v31, v24, v25
	v_pk_mul_f16 v29, 0xb853ba0c, v38 op_sel_hi:[1,0]
	v_sub_f16_e32 v37, v7, v20
	v_pk_add_f16 v0, v0, v1
	v_pk_add_f16 v1, v5, v2 op_sel_hi:[0,1]
	v_lshl_add_u32 v2, v8, 1, 0
	global_wb scope:SCOPE_SE
	s_wait_dscnt 0x0
	s_barrier_signal -1
	v_pk_add_f16 v0, v0, v21
	v_pk_add_f16 v7, v1, v22
	s_barrier_wait -1
	global_inv scope:SCOPE_SE
	ds_load_u16 v20, v2
	ds_load_u16 v24, v2 offset:220
	ds_load_u16 v21, v2 offset:440
	;; [unrolled: 1-line block ×5, first 2 shown]
	v_add_f16_e32 v26, v15, v13
	v_pk_mul_f16 v33, 0x3bebb853, v31 op_sel_hi:[1,0]
	v_pk_fma_f16 v35, 0x3abbb93d, v32, v29 op_sel_hi:[1,0,1] neg_lo:[0,0,1] neg_hi:[0,0,1]
	v_pk_mul_f16 v30, 0xb4823b47, v31 op_sel_hi:[1,0]
	v_add_f16_e32 v25, v14, v18
	v_pk_mul_f16 v36, 0x3853ba0c, v37 op_sel_hi:[1,0]
	v_pk_fma_f16 v45, 0xb08e3abb, v26, v33 op_sel_hi:[1,0,1] neg_lo:[0,0,1] neg_hi:[0,0,1]
	v_pk_add_f16 v7, v7, v35
	v_pk_fma_f16 v46, 0xbbad36a6, v26, v30 op_sel_hi:[1,0,1] neg_lo:[0,0,1] neg_hi:[0,0,1]
	v_pk_mul_f16 v35, 0x3b47bbeb, v37 op_sel_hi:[1,0]
	global_wb scope:SCOPE_SE
	s_wait_dscnt 0x0
	v_pk_add_f16 v0, v0, v45
	v_pk_fma_f16 v45, 0x3abbb93d, v25, v36 op_sel_hi:[1,0,1] neg_lo:[0,0,1] neg_hi:[0,0,1]
	v_pk_add_f16 v7, v7, v46
	v_pk_fma_f16 v46, 0x36a6b08e, v25, v35 op_sel_hi:[1,0,1] neg_lo:[0,0,1] neg_hi:[0,0,1]
	s_barrier_signal -1
	s_barrier_wait -1
	v_pk_add_f16 v0, v0, v45
	global_inv scope:SCOPE_SE
	v_pk_add_f16 v7, v7, v46
	s_and_saveexec_b32 s1, s0
	s_cbranch_execz .LBB0_15
; %bb.14:
	v_add_f16_e32 v19, v5, v19
	v_pk_mul_f16 v46, 0x36a6b08e, v42 op_sel_hi:[1,0]
	v_mul_f16_e32 v61, 0x3abb, v42
	v_pack_b32_f16 v45, v42, v42
	v_pk_mul_f16 v49, 0xb93dbbad, v34 op_sel_hi:[1,0]
	v_add_f16_e32 v17, v19, v17
	v_pack_b32_f16 v50, v43, v43
	v_mul_f16_e32 v62, 0x36a6, v34
	v_perm_b32 v48, v5, v5, 0x5040100
	v_pack_b32_f16 v19, v34, v34
	v_add_f16_e32 v16, v17, v16
	v_pk_mul_f16 v17, 0xbbad36a6, v32 op_sel_hi:[1,0]
	v_pack_b32_f16 v52, v38, v38
	v_pk_mul_f16 v58, 0xb08e3abb, v34 op_sel_hi:[1,0]
	v_pack_b32_f16 v47, v44, v44
	v_add_f16_e32 v15, v16, v15
	v_pack_b32_f16 v51, v32, v32
	v_pk_mul_f16 v59, 0x3abbb93d, v32 op_sel_hi:[1,0]
	v_pk_mul_f16 v54, 0xb08e3abb, v26 op_sel_hi:[1,0]
	v_pack_b32_f16 v16, v31, v31
	v_add_f16_e32 v14, v15, v14
	v_pk_mul_f16 v15, 0xb93dbbad, v42 op_sel_hi:[1,0]
	v_pack_b32_f16 v53, v26, v26
	v_pk_mul_f16 v56, 0x3abbb93d, v25 op_sel_hi:[1,0]
	v_pack_b32_f16 v57, v37, v37
	v_add_f16_e32 v14, v14, v18
	v_mul_f16_e32 v18, 0xb853, v44
	v_add_f16_e32 v15, v15, v28
	v_pk_mul_f16 v28, 0x3beb3482, v50
	v_pk_mul_f16 v60, 0xbbad36a6, v26 op_sel_hi:[1,0]
	v_add_f16_e32 v13, v13, v14
	v_fma_f16 v14, v42, 0x3abb, -v18
	v_mul_f16_e32 v42, 0xbb47, v43
	v_bfi_b32 v43, 0xffff, v61, v46
	v_bfi_b32 v18, 0xffff, v18, v40
	v_add_f16_e32 v9, v9, v13
	v_add_f16_e32 v13, v5, v14
	v_fma_f16 v14, v34, 0x36a6, -v42
	v_mul_f16_e32 v34, 0xbbeb, v38
	v_pk_add_f16 v18, v43, v18
	v_bfi_b32 v38, 0xffff, v62, v49
	v_bfi_b32 v39, 0xffff, v42, v39
	v_mul_f16_e32 v40, 0xb08e, v32
	v_add_f16_e32 v13, v13, v14
	v_fma_f16 v14, v32, 0xb08e, -v34
	v_pk_add_f16 v18, v48, v18
	v_pk_add_f16 v32, v38, v39
	v_bfi_b32 v17, 0xffff, v40, v17
	v_bfi_b32 v34, 0xffff, v34, v41
	v_add_f16_e32 v6, v6, v9
	v_add_f16_e32 v9, v13, v14
	v_pk_add_f16 v14, v18, v32
	v_pk_mul_f16 v32, 0xba0cbbeb, v47
	v_pk_add_f16 v17, v17, v34
	v_mul_f16_e32 v13, 0xb93d, v26
	v_mul_f16_e32 v18, 0xba0c, v31
	v_add_f16_e32 v5, v5, v15
	v_add_f16_e32 v15, v58, v27
	v_pk_add_f16 v14, v14, v17
	v_pk_fma_f16 v17, 0xb93db08e, v45, v32
	v_bfi_b32 v13, 0xffff, v13, v54
	v_bfi_b32 v32, 0xffff, v18, v33
	v_pk_fma_f16 v19, 0xb08ebbad, v19, v28
	v_pk_mul_f16 v27, 0xb8533b47, v52
	v_pk_add_f16 v17, v48, v17
	v_mul_f16_e32 v31, 0xbbad, v25
	v_mul_f16_e32 v34, 0xb482, v37
	v_pk_add_f16 v13, v13, v32
	v_add_f16_e32 v5, v5, v15
	v_add_f16_e32 v15, v59, v29
	v_pk_add_f16 v17, v17, v19
	v_pk_fma_f16 v19, 0x3abb36a6, v51, v27
	v_pk_mul_f16 v16, 0xb482b853, v16
	v_pack_b32_f16 v55, v25, v25
	v_pk_mul_f16 v44, 0x36a6b08e, v25 op_sel_hi:[1,0]
	v_pk_add_f16 v13, v14, v13
	v_add_f16_e32 v5, v5, v15
	v_add_f16_e32 v14, v60, v30
	v_pk_add_f16 v15, v17, v19
	v_pk_fma_f16 v16, 0xbbad3abb, v53, v16
	v_pk_mul_f16 v17, 0x3b47ba0c, v57
	v_bfi_b32 v19, 0xffff, v31, v56
	v_bfi_b32 v27, 0xffff, v34, v36
	v_add_f16_e32 v5, v5, v14
	v_pk_add_f16 v14, v15, v16
	v_pk_fma_f16 v15, 0x36a6b93d, v55, v17
	v_add_f16_e32 v16, v44, v35
	v_pk_add_f16 v17, v19, v27
	v_fma_f16 v18, v26, 0xb93d, -v18
	v_add_f16_e32 v4, v4, v6
	v_pk_add_f16 v14, v14, v15
	v_add_f16_e32 v5, v5, v16
	v_pk_add_f16 v13, v13, v17
	v_add_f16_e32 v9, v9, v18
	v_fma_f16 v15, v25, 0xbbad, -v34
	v_mad_u32_u24 v16, v8, 20, v2
	v_alignbit_b32 v6, v5, v14, 16
	v_alignbit_b32 v5, v14, v13, 16
	v_pack_b32_f16 v4, v4, v13
	v_add_f16_e32 v9, v9, v15
	ds_store_b128 v16, v[4:7]
	ds_store_b32 v16, v0 offset:16
	ds_store_b16 v16, v9 offset:20
.LBB0_15:
	s_wait_alu 0xfffe
	s_or_b32 exec_lo, exec_lo, s1
	v_and_b32_e32 v4, 0xff, v8
	global_wb scope:SCOPE_SE
	s_wait_dscnt 0x0
	s_barrier_signal -1
	s_barrier_wait -1
	global_inv scope:SCOPE_SE
	v_mul_lo_u16 v4, 0x75, v4
	v_cmp_gt_u32_e64 s0, 0x42, v8
	s_delay_alu instid0(VALU_DEP_2) | instskip(NEXT) | instid1(VALU_DEP_1)
	v_lshrrev_b16 v4, 8, v4
	v_sub_nc_u16 v5, v8, v4
	s_delay_alu instid0(VALU_DEP_1) | instskip(NEXT) | instid1(VALU_DEP_1)
	v_lshrrev_b16 v5, 1, v5
	v_and_b32_e32 v5, 0x7f, v5
	s_delay_alu instid0(VALU_DEP_1) | instskip(NEXT) | instid1(VALU_DEP_1)
	v_add_nc_u16 v4, v5, v4
	v_lshrrev_b16 v4, 3, v4
	s_delay_alu instid0(VALU_DEP_1) | instskip(SKIP_1) | instid1(VALU_DEP_2)
	v_mul_lo_u16 v5, v4, 11
	v_and_b32_e32 v4, 0xffff, v4
	v_sub_nc_u16 v5, v8, v5
	s_delay_alu instid0(VALU_DEP_2) | instskip(NEXT) | instid1(VALU_DEP_2)
	v_mul_u32_u24_e32 v4, 0x84, v4
	v_and_b32_e32 v5, 0xff, v5
	s_delay_alu instid0(VALU_DEP_1) | instskip(SKIP_1) | instid1(VALU_DEP_2)
	v_mul_u32_u24_e32 v6, 5, v5
	v_lshlrev_b32_e32 v5, 1, v5
	v_lshlrev_b32_e32 v6, 2, v6
	s_delay_alu instid0(VALU_DEP_2)
	v_add3_u32 v25, 0, v4, v5
	s_clause 0x1
	global_load_b128 v[27:30], v6, s[4:5]
	global_load_b32 v6, v6, s[4:5] offset:16
	ds_load_u16 v13, v2 offset:220
	ds_load_u16 v14, v2 offset:440
	;; [unrolled: 1-line block ×5, first 2 shown]
	ds_load_u16 v9, v2
	global_wb scope:SCOPE_SE
	s_wait_loadcnt_dscnt 0x0
	s_barrier_signal -1
	s_barrier_wait -1
	global_inv scope:SCOPE_SE
	v_lshrrev_b32_e32 v4, 16, v27
	v_lshrrev_b32_e32 v5, 16, v28
	;; [unrolled: 1-line block ×5, first 2 shown]
	v_mul_f16_e32 v34, v13, v4
	v_mul_f16_e32 v18, v24, v4
	;; [unrolled: 1-line block ×9, first 2 shown]
	v_fma_f16 v21, v21, v28, -v4
	v_fma_f16 v4, v22, v29, -v5
	v_fmac_f16_e32 v19, v31, v29
	v_fma_f16 v5, v23, v6, -v36
	v_fmac_f16_e32 v17, v33, v6
	v_mul_f16_e32 v16, v1, v16
	v_fma_f16 v15, v24, v27, -v34
	v_fmac_f16_e32 v18, v13, v27
	v_fma_f16 v24, v1, v30, -v35
	v_add_f16_e32 v1, v4, v5
	v_add_f16_e32 v6, v19, v17
	v_fmac_f16_e32 v26, v14, v28
	v_add_f16_e32 v13, v15, v4
	v_sub_f16_e32 v14, v19, v17
	v_sub_f16_e32 v4, v4, v5
	v_fmac_f16_e32 v15, -0.5, v1
	v_fma_f16 v22, -0.5, v6, v18
	v_fmac_f16_e32 v16, v32, v30
	v_add_f16_e32 v6, v21, v24
	v_add_f16_e32 v1, v20, v21
	v_fmamk_f16 v27, v14, 0x3aee, v15
	v_fmamk_f16 v23, v4, 0xbaee, v22
	v_fmac_f16_e32 v15, 0xbaee, v14
	v_sub_f16_e32 v28, v26, v16
	v_fmac_f16_e32 v20, -0.5, v6
	v_fmac_f16_e32 v22, 0x3aee, v4
	v_mul_f16_e32 v29, 0x3aee, v23
	v_mul_f16_e32 v30, -0.5, v15
	v_add_f16_e32 v14, v1, v24
	v_add_f16_e32 v4, v13, v5
	v_fmamk_f16 v13, v28, 0x3aee, v20
	v_fmac_f16_e32 v20, 0xbaee, v28
	v_fmac_f16_e32 v29, 0.5, v27
	v_fmac_f16_e32 v30, 0x3aee, v22
	v_add_f16_e32 v1, v14, v4
	v_sub_f16_e32 v5, v14, v4
	s_delay_alu instid0(VALU_DEP_4) | instskip(NEXT) | instid1(VALU_DEP_4)
	v_add_f16_e32 v4, v13, v29
	v_add_f16_e32 v6, v20, v30
	v_sub_f16_e32 v14, v13, v29
	v_sub_f16_e32 v13, v20, v30
	ds_store_b16 v25, v1
	ds_store_b16 v25, v4 offset:22
	ds_store_b16 v25, v6 offset:44
	;; [unrolled: 1-line block ×5, first 2 shown]
	global_wb scope:SCOPE_SE
	s_wait_dscnt 0x0
	s_barrier_signal -1
	s_barrier_wait -1
	global_inv scope:SCOPE_SE
	s_and_saveexec_b32 s1, s0
	s_cbranch_execz .LBB0_17
; %bb.16:
	ds_load_u16 v3, v2 offset:792
	ds_load_u16 v12, v2 offset:1056
	ds_load_u16 v1, v2
	ds_load_u16 v4, v2 offset:132
	ds_load_u16 v6, v2 offset:264
	;; [unrolled: 1-line block ×5, first 2 shown]
	s_wait_dscnt 0x7
	ds_load_u16_d16_hi v3, v2 offset:924
	s_wait_dscnt 0x7
	ds_load_u16_d16_hi v12, v2 offset:1188
.LBB0_17:
	s_wait_alu 0xfffe
	s_or_b32 exec_lo, exec_lo, s1
	v_add_f16_e32 v20, v26, v16
	v_add_f16_e32 v26, v9, v26
	v_sub_f16_e32 v21, v21, v24
	v_add_f16_e32 v18, v18, v19
	v_mul_f16_e32 v24, 0xbaee, v27
	v_fmac_f16_e32 v9, -0.5, v20
	v_mul_f16_e32 v22, -0.5, v22
	v_add_f16_e32 v20, v26, v16
	v_add_f16_e32 v17, v18, v17
	v_fmac_f16_e32 v24, 0.5, v23
	v_fmamk_f16 v18, v21, 0xbaee, v9
	v_fmac_f16_e32 v22, 0xbaee, v15
	v_fmac_f16_e32 v9, 0x3aee, v21
	v_add_f16_e32 v15, v20, v17
	v_sub_f16_e32 v17, v20, v17
	v_add_f16_e32 v16, v18, v24
	v_sub_f16_e32 v20, v18, v24
	;; [unrolled: 2-line block ×3, first 2 shown]
	global_wb scope:SCOPE_SE
	s_wait_dscnt 0x0
	s_barrier_signal -1
	s_barrier_wait -1
	global_inv scope:SCOPE_SE
	ds_store_b16 v25, v15
	ds_store_b16 v25, v16 offset:22
	ds_store_b16 v25, v19 offset:44
	;; [unrolled: 1-line block ×5, first 2 shown]
	global_wb scope:SCOPE_SE
	s_wait_dscnt 0x0
	s_barrier_signal -1
	s_barrier_wait -1
	global_inv scope:SCOPE_SE
	s_and_saveexec_b32 s1, s0
	s_cbranch_execnz .LBB0_20
; %bb.18:
	s_wait_alu 0xfffe
	s_or_b32 exec_lo, exec_lo, s1
	s_and_b32 s0, vcc_lo, s0
	s_wait_alu 0xfffe
	s_and_saveexec_b32 s1, s0
	s_cbranch_execnz .LBB0_21
.LBB0_19:
	s_endpgm
.LBB0_20:
	ds_load_u16 v7, v2 offset:792
	ds_load_u16 v0, v2 offset:1056
	ds_load_u16 v15, v2
	ds_load_u16 v16, v2 offset:132
	ds_load_u16 v19, v2 offset:264
	;; [unrolled: 1-line block ×5, first 2 shown]
	s_wait_dscnt 0x7
	ds_load_u16_d16_hi v7, v2 offset:924
	s_wait_dscnt 0x7
	ds_load_u16_d16_hi v0, v2 offset:1188
	s_wait_alu 0xfffe
	s_or_b32 exec_lo, exec_lo, s1
	s_and_b32 s0, vcc_lo, s0
	s_wait_alu 0xfffe
	s_and_saveexec_b32 s1, s0
	s_cbranch_execz .LBB0_19
.LBB0_21:
	v_mul_u32_u24_e32 v2, 9, v8
	v_add_co_u32 v10, vcc_lo, s8, v10
	s_wait_alu 0xfffd
	v_add_co_ci_u32_e32 v11, vcc_lo, s9, v11, vcc_lo
	s_delay_alu instid0(VALU_DEP_3)
	v_dual_mov_b32 v9, 0 :: v_dual_lshlrev_b32 v2, 2, v2
	v_lshrrev_b32_e32 v29, 16, v12
	s_wait_dscnt 0x0
	v_lshrrev_b32_e32 v30, 16, v0
	v_lshrrev_b32_e32 v31, 16, v3
	s_clause 0x2
	global_load_b128 v[21:24], v2, s[4:5] offset:220
	global_load_b128 v[25:28], v2, s[4:5] offset:236
	global_load_b32 v2, v2, s[4:5] offset:252
	v_lshlrev_b64_e32 v[8:9], 2, v[8:9]
	v_lshrrev_b32_e32 v32, 16, v7
	s_delay_alu instid0(VALU_DEP_2) | instskip(SKIP_1) | instid1(VALU_DEP_3)
	v_add_co_u32 v8, vcc_lo, v10, v8
	s_wait_alu 0xfffd
	v_add_co_ci_u32_e32 v9, vcc_lo, v11, v9, vcc_lo
	s_wait_loadcnt 0x2
	v_lshrrev_b32_e32 v11, 16, v22
	v_lshrrev_b32_e32 v33, 16, v23
	;; [unrolled: 1-line block ×3, first 2 shown]
	v_mul_f16_e32 v35, v19, v22
	v_mul_f16_e32 v36, v20, v24
	s_wait_loadcnt 0x1
	v_lshrrev_b32_e32 v37, 16, v25
	v_lshrrev_b32_e32 v38, 16, v26
	;; [unrolled: 1-line block ×4, first 2 shown]
	v_mul_f16_e32 v41, v0, v28
	v_mul_f16_e32 v42, v7, v26
	s_wait_loadcnt 0x0
	v_lshrrev_b32_e32 v43, 16, v2
	v_lshrrev_b32_e32 v10, 16, v21
	v_fmac_f16_e32 v35, v6, v11
	v_fmac_f16_e32 v36, v14, v34
	;; [unrolled: 1-line block ×4, first 2 shown]
	v_mul_f16_e32 v20, v20, v34
	v_mul_f16_e32 v7, v7, v38
	;; [unrolled: 1-line block ×14, first 2 shown]
	v_fma_f16 v6, v6, v22, -v11
	v_fma_f16 v0, v12, v28, -v0
	;; [unrolled: 1-line block ×6, first 2 shown]
	v_fmac_f16_e32 v33, v17, v23
	v_fmac_f16_e32 v43, v30, v2
	;; [unrolled: 1-line block ×4, first 2 shown]
	v_sub_f16_e32 v45, v35, v36
	v_fma_f16 v14, v14, v24, -v20
	v_fma_f16 v3, v3, v26, -v7
	;; [unrolled: 1-line block ×3, first 2 shown]
	v_fmac_f16_e32 v10, v16, v21
	v_sub_f16_e32 v2, v36, v35
	v_sub_f16_e32 v16, v42, v41
	v_add_f16_e32 v17, v35, v41
	v_add_f16_e32 v18, v15, v35
	v_sub_f16_e32 v19, v35, v41
	v_sub_f16_e32 v24, v5, v11
	;; [unrolled: 1-line block ×3, first 2 shown]
	v_add_f16_e32 v26, v11, v13
	v_sub_f16_e32 v29, v33, v37
	v_sub_f16_e32 v30, v43, v39
	v_add_f16_e32 v34, v37, v39
	v_add_f16_e32 v35, v5, v12
	;; [unrolled: 1-line block ×4, first 2 shown]
	v_sub_f16_e32 v46, v41, v42
	v_sub_f16_e32 v20, v36, v42
	;; [unrolled: 1-line block ×6, first 2 shown]
	v_add_f16_e32 v2, v2, v16
	v_sub_f16_e32 v16, v11, v5
	v_sub_f16_e32 v38, v37, v33
	v_add_f16_e32 v18, v18, v36
	v_add_f16_e32 v33, v33, v10
	v_sub_f16_e32 v36, v6, v14
	v_sub_f16_e32 v47, v14, v6
	v_add_f16_e32 v49, v6, v0
	v_add_f16_e32 v6, v1, v6
	;; [unrolled: 1-line block ×4, first 2 shown]
	v_fma_f16 v25, -0.5, v26, v4
	v_add_f16_e32 v26, v29, v30
	v_fma_f16 v29, -0.5, v34, v10
	v_fma_f16 v4, -0.5, v35, v4
	;; [unrolled: 1-line block ×3, first 2 shown]
	v_sub_f16_e32 v31, v11, v13
	v_fma_f16 v15, -0.5, v17, v15
	v_sub_f16_e32 v17, v13, v12
	v_sub_f16_e32 v40, v39, v43
	v_fma_f16 v10, -0.5, v44, v10
	v_sub_f16_e32 v22, v14, v3
	v_add_f16_e32 v21, v45, v46
	v_add_f16_e32 v46, v14, v3
	v_add_f16_e32 v33, v37, v33
	v_add_f16_e32 v6, v6, v14
	v_add_f16_e32 v5, v11, v5
	v_fmamk_f16 v11, v27, 0xbb9c, v25
	v_fmamk_f16 v14, v32, 0x3b9c, v29
	;; [unrolled: 1-line block ×3, first 2 shown]
	v_fmac_f16_e32 v4, 0xbb9c, v28
	v_fmac_f16_e32 v29, 0xbb9c, v32
	;; [unrolled: 1-line block ×3, first 2 shown]
	v_add_f16_e32 v16, v16, v17
	v_add_f16_e32 v17, v38, v40
	v_fmamk_f16 v38, v31, 0xbb9c, v10
	v_fmac_f16_e32 v10, 0x3b9c, v31
	v_fmamk_f16 v50, v23, 0x3b9c, v7
	v_fmamk_f16 v30, v22, 0xbb9c, v15
	v_fmac_f16_e32 v15, 0x3b9c, v22
	v_fmac_f16_e32 v7, 0xbb9c, v23
	v_fma_f16 v35, -0.5, v46, v1
	v_fmac_f16_e32 v4, 0x38b4, v27
	v_fmac_f16_e32 v29, 0xb8b4, v31
	v_fmac_f16_e32 v25, 0x38b4, v28
	v_fma_f16 v1, -0.5, v49, v1
	v_fmac_f16_e32 v10, 0xb8b4, v32
	v_sub_f16_e32 v45, v0, v3
	v_sub_f16_e32 v48, v3, v0
	v_add_f16_e32 v18, v18, v42
	v_fmac_f16_e32 v50, 0x38b4, v22
	v_fmac_f16_e32 v30, 0x38b4, v23
	;; [unrolled: 1-line block ×4, first 2 shown]
	v_add_f16_e32 v22, v39, v33
	v_add_f16_e32 v3, v6, v3
	;; [unrolled: 1-line block ×3, first 2 shown]
	v_fmac_f16_e32 v37, 0xb8b4, v27
	v_fmac_f16_e32 v38, 0x38b4, v32
	;; [unrolled: 1-line block ×4, first 2 shown]
	v_fmamk_f16 v23, v19, 0xbb9c, v35
	v_fmac_f16_e32 v35, 0x3b9c, v19
	v_fmac_f16_e32 v4, 0x34f2, v16
	;; [unrolled: 1-line block ×4, first 2 shown]
	v_fmamk_f16 v33, v20, 0x3b9c, v1
	v_fmac_f16_e32 v1, 0xbb9c, v20
	v_fmac_f16_e32 v10, 0x34f2, v17
	v_add_f16_e32 v18, v41, v18
	v_fmac_f16_e32 v30, 0x34f2, v2
	v_fmac_f16_e32 v15, 0x34f2, v2
	v_add_f16_e32 v2, v43, v22
	v_add_f16_e32 v0, v0, v3
	;; [unrolled: 1-line block ×3, first 2 shown]
	v_fmac_f16_e32 v37, 0x34f2, v16
	v_fmac_f16_e32 v38, 0x34f2, v17
	v_fmac_f16_e32 v11, 0x34f2, v24
	v_fmac_f16_e32 v14, 0x34f2, v26
	v_add_f16_e32 v34, v36, v45
	v_fmac_f16_e32 v23, 0xb8b4, v20
	v_fmac_f16_e32 v35, 0x38b4, v20
	v_mul_f16_e32 v13, 0xbb9c, v4
	v_mul_f16_e32 v16, 0xb8b4, v25
	;; [unrolled: 1-line block ×3, first 2 shown]
	v_add_f16_e32 v36, v47, v48
	v_fmac_f16_e32 v33, 0xb8b4, v19
	v_fmac_f16_e32 v1, 0x38b4, v19
	v_mul_f16_e32 v19, 0x3b9c, v10
	v_sub_f16_e32 v5, v18, v2
	v_sub_f16_e32 v6, v0, v3
	v_add_f16_e32 v2, v18, v2
	v_add_f16_e32 v0, v0, v3
	v_mul_f16_e32 v12, 0x34f2, v38
	v_mul_f16_e32 v18, 0x34f2, v37
	;; [unrolled: 1-line block ×4, first 2 shown]
	v_fmac_f16_e32 v7, 0x34f2, v21
	v_fmac_f16_e32 v35, 0x34f2, v34
	v_fmac_f16_e32 v13, 0x34f2, v10
	v_fmac_f16_e32 v16, 0x3a79, v29
	v_fmac_f16_e32 v20, 0x3a79, v25
	v_fmac_f16_e32 v1, 0x34f2, v36
	v_fmac_f16_e32 v19, 0x34f2, v4
	v_fmac_f16_e32 v33, 0x34f2, v36
	v_pack_b32_f16 v0, v0, v2
	v_pack_b32_f16 v2, v6, v5
	v_fma_f16 v5, v37, 0xbb9c, -v12
	v_fma_f16 v10, v38, 0x3b9c, -v18
	v_fmac_f16_e32 v50, 0x34f2, v21
	v_fmac_f16_e32 v23, 0x34f2, v34
	v_fma_f16 v3, v11, 0xb8b4, -v3
	v_fma_f16 v6, v14, 0x38b4, -v17
	v_sub_f16_e32 v12, v15, v13
	v_sub_f16_e32 v14, v7, v16
	v_add_f16_e32 v13, v15, v13
	v_add_f16_e32 v7, v7, v16
	;; [unrolled: 1-line block ×3, first 2 shown]
	v_sub_f16_e32 v21, v1, v19
	v_add_f16_e32 v1, v1, v19
	v_sub_f16_e32 v11, v30, v5
	v_sub_f16_e32 v18, v33, v10
	v_add_f16_e32 v5, v30, v5
	v_add_f16_e32 v10, v33, v10
	v_sub_f16_e32 v4, v50, v3
	v_sub_f16_e32 v17, v23, v6
	v_add_f16_e32 v3, v50, v3
	v_add_f16_e32 v6, v23, v6
	v_sub_f16_e32 v16, v35, v20
	v_pack_b32_f16 v7, v15, v7
	v_pack_b32_f16 v1, v1, v13
	;; [unrolled: 1-line block ×8, first 2 shown]
	s_clause 0x9
	global_store_b32 v[8:9], v0, off
	global_store_b32 v[8:9], v7, off offset:264
	global_store_b32 v[8:9], v1, off offset:528
	;; [unrolled: 1-line block ×9, first 2 shown]
	s_nop 0
	s_sendmsg sendmsg(MSG_DEALLOC_VGPRS)
	s_endpgm
	.section	.rodata,"a",@progbits
	.p2align	6, 0x0
	.amdhsa_kernel fft_rtc_fwd_len660_factors_11_6_10_wgs_110_tpt_110_halfLds_half_ip_CI_unitstride_sbrr_dirReg
		.amdhsa_group_segment_fixed_size 0
		.amdhsa_private_segment_fixed_size 0
		.amdhsa_kernarg_size 88
		.amdhsa_user_sgpr_count 2
		.amdhsa_user_sgpr_dispatch_ptr 0
		.amdhsa_user_sgpr_queue_ptr 0
		.amdhsa_user_sgpr_kernarg_segment_ptr 1
		.amdhsa_user_sgpr_dispatch_id 0
		.amdhsa_user_sgpr_private_segment_size 0
		.amdhsa_wavefront_size32 1
		.amdhsa_uses_dynamic_stack 0
		.amdhsa_enable_private_segment 0
		.amdhsa_system_sgpr_workgroup_id_x 1
		.amdhsa_system_sgpr_workgroup_id_y 0
		.amdhsa_system_sgpr_workgroup_id_z 0
		.amdhsa_system_sgpr_workgroup_info 0
		.amdhsa_system_vgpr_workitem_id 0
		.amdhsa_next_free_vgpr 66
		.amdhsa_next_free_sgpr 32
		.amdhsa_reserve_vcc 1
		.amdhsa_float_round_mode_32 0
		.amdhsa_float_round_mode_16_64 0
		.amdhsa_float_denorm_mode_32 3
		.amdhsa_float_denorm_mode_16_64 3
		.amdhsa_fp16_overflow 0
		.amdhsa_workgroup_processor_mode 1
		.amdhsa_memory_ordered 1
		.amdhsa_forward_progress 0
		.amdhsa_round_robin_scheduling 0
		.amdhsa_exception_fp_ieee_invalid_op 0
		.amdhsa_exception_fp_denorm_src 0
		.amdhsa_exception_fp_ieee_div_zero 0
		.amdhsa_exception_fp_ieee_overflow 0
		.amdhsa_exception_fp_ieee_underflow 0
		.amdhsa_exception_fp_ieee_inexact 0
		.amdhsa_exception_int_div_zero 0
	.end_amdhsa_kernel
	.text
.Lfunc_end0:
	.size	fft_rtc_fwd_len660_factors_11_6_10_wgs_110_tpt_110_halfLds_half_ip_CI_unitstride_sbrr_dirReg, .Lfunc_end0-fft_rtc_fwd_len660_factors_11_6_10_wgs_110_tpt_110_halfLds_half_ip_CI_unitstride_sbrr_dirReg
                                        ; -- End function
	.section	.AMDGPU.csdata,"",@progbits
; Kernel info:
; codeLenInByte = 6796
; NumSgprs: 34
; NumVgprs: 66
; ScratchSize: 0
; MemoryBound: 0
; FloatMode: 240
; IeeeMode: 1
; LDSByteSize: 0 bytes/workgroup (compile time only)
; SGPRBlocks: 4
; VGPRBlocks: 8
; NumSGPRsForWavesPerEU: 34
; NumVGPRsForWavesPerEU: 66
; Occupancy: 16
; WaveLimiterHint : 1
; COMPUTE_PGM_RSRC2:SCRATCH_EN: 0
; COMPUTE_PGM_RSRC2:USER_SGPR: 2
; COMPUTE_PGM_RSRC2:TRAP_HANDLER: 0
; COMPUTE_PGM_RSRC2:TGID_X_EN: 1
; COMPUTE_PGM_RSRC2:TGID_Y_EN: 0
; COMPUTE_PGM_RSRC2:TGID_Z_EN: 0
; COMPUTE_PGM_RSRC2:TIDIG_COMP_CNT: 0
	.text
	.p2alignl 7, 3214868480
	.fill 96, 4, 3214868480
	.type	__hip_cuid_b681d106d2af228b,@object ; @__hip_cuid_b681d106d2af228b
	.section	.bss,"aw",@nobits
	.globl	__hip_cuid_b681d106d2af228b
__hip_cuid_b681d106d2af228b:
	.byte	0                               ; 0x0
	.size	__hip_cuid_b681d106d2af228b, 1

	.ident	"AMD clang version 19.0.0git (https://github.com/RadeonOpenCompute/llvm-project roc-6.4.0 25133 c7fe45cf4b819c5991fe208aaa96edf142730f1d)"
	.section	".note.GNU-stack","",@progbits
	.addrsig
	.addrsig_sym __hip_cuid_b681d106d2af228b
	.amdgpu_metadata
---
amdhsa.kernels:
  - .args:
      - .actual_access:  read_only
        .address_space:  global
        .offset:         0
        .size:           8
        .value_kind:     global_buffer
      - .offset:         8
        .size:           8
        .value_kind:     by_value
      - .actual_access:  read_only
        .address_space:  global
        .offset:         16
        .size:           8
        .value_kind:     global_buffer
      - .actual_access:  read_only
        .address_space:  global
        .offset:         24
        .size:           8
        .value_kind:     global_buffer
      - .offset:         32
        .size:           8
        .value_kind:     by_value
      - .actual_access:  read_only
        .address_space:  global
        .offset:         40
        .size:           8
        .value_kind:     global_buffer
      - .actual_access:  read_only
        .address_space:  global
        .offset:         48
        .size:           8
        .value_kind:     global_buffer
      - .offset:         56
        .size:           4
        .value_kind:     by_value
      - .actual_access:  read_only
        .address_space:  global
        .offset:         64
        .size:           8
        .value_kind:     global_buffer
      - .actual_access:  read_only
        .address_space:  global
        .offset:         72
        .size:           8
        .value_kind:     global_buffer
      - .address_space:  global
        .offset:         80
        .size:           8
        .value_kind:     global_buffer
    .group_segment_fixed_size: 0
    .kernarg_segment_align: 8
    .kernarg_segment_size: 88
    .language:       OpenCL C
    .language_version:
      - 2
      - 0
    .max_flat_workgroup_size: 110
    .name:           fft_rtc_fwd_len660_factors_11_6_10_wgs_110_tpt_110_halfLds_half_ip_CI_unitstride_sbrr_dirReg
    .private_segment_fixed_size: 0
    .sgpr_count:     34
    .sgpr_spill_count: 0
    .symbol:         fft_rtc_fwd_len660_factors_11_6_10_wgs_110_tpt_110_halfLds_half_ip_CI_unitstride_sbrr_dirReg.kd
    .uniform_work_group_size: 1
    .uses_dynamic_stack: false
    .vgpr_count:     66
    .vgpr_spill_count: 0
    .wavefront_size: 32
    .workgroup_processor_mode: 1
amdhsa.target:   amdgcn-amd-amdhsa--gfx1201
amdhsa.version:
  - 1
  - 2
...

	.end_amdgpu_metadata
